;; amdgpu-corpus repo=ROCm/rocFFT kind=compiled arch=gfx950 opt=O3
	.text
	.amdgcn_target "amdgcn-amd-amdhsa--gfx950"
	.amdhsa_code_object_version 6
	.protected	fft_rtc_back_len567_factors_7_9_3_3_wgs_63_tpt_63_sp_op_CI_CI_sbrr_dirReg ; -- Begin function fft_rtc_back_len567_factors_7_9_3_3_wgs_63_tpt_63_sp_op_CI_CI_sbrr_dirReg
	.globl	fft_rtc_back_len567_factors_7_9_3_3_wgs_63_tpt_63_sp_op_CI_CI_sbrr_dirReg
	.p2align	8
	.type	fft_rtc_back_len567_factors_7_9_3_3_wgs_63_tpt_63_sp_op_CI_CI_sbrr_dirReg,@function
fft_rtc_back_len567_factors_7_9_3_3_wgs_63_tpt_63_sp_op_CI_CI_sbrr_dirReg: ; @fft_rtc_back_len567_factors_7_9_3_3_wgs_63_tpt_63_sp_op_CI_CI_sbrr_dirReg
; %bb.0:
	s_load_dwordx4 s[12:15], s[0:1], 0x18
	s_load_dwordx4 s[8:11], s[0:1], 0x0
	;; [unrolled: 1-line block ×3, first 2 shown]
	v_mul_u32_u24_e32 v1, 0x411, v0
	v_add_u32_sdwa v6, s2, v1 dst_sel:DWORD dst_unused:UNUSED_PAD src0_sel:DWORD src1_sel:WORD_1
	s_waitcnt lgkmcnt(0)
	s_load_dwordx2 s[18:19], s[12:13], 0x0
	s_load_dwordx2 s[16:17], s[14:15], 0x0
	v_mov_b32_e32 v4, 0
	v_cmp_lt_u64_e64 s[2:3], s[10:11], 2
	v_mov_b32_e32 v7, v4
	s_and_b64 vcc, exec, s[2:3]
	v_mov_b64_e32 v[2:3], 0
	s_cbranch_vccnz .LBB0_8
; %bb.1:
	s_load_dwordx2 s[2:3], s[0:1], 0x10
	s_add_u32 s20, s14, 8
	s_addc_u32 s21, s15, 0
	s_add_u32 s22, s12, 8
	s_addc_u32 s23, s13, 0
	s_waitcnt lgkmcnt(0)
	s_add_u32 s24, s2, 8
	v_mov_b64_e32 v[2:3], 0
	s_addc_u32 s25, s3, 0
	s_mov_b64 s[26:27], 1
	v_mov_b64_e32 v[28:29], v[2:3]
.LBB0_2:                                ; =>This Inner Loop Header: Depth=1
	s_load_dwordx2 s[28:29], s[24:25], 0x0
                                        ; implicit-def: $vgpr30_vgpr31
	s_waitcnt lgkmcnt(0)
	v_or_b32_e32 v5, s29, v7
	v_cmp_ne_u64_e32 vcc, 0, v[4:5]
	s_and_saveexec_b64 s[2:3], vcc
	s_xor_b64 s[30:31], exec, s[2:3]
	s_cbranch_execz .LBB0_4
; %bb.3:                                ;   in Loop: Header=BB0_2 Depth=1
	v_cvt_f32_u32_e32 v1, s28
	v_cvt_f32_u32_e32 v5, s29
	s_sub_u32 s2, 0, s28
	s_subb_u32 s3, 0, s29
	v_fmac_f32_e32 v1, 0x4f800000, v5
	v_rcp_f32_e32 v1, v1
	s_nop 0
	v_mul_f32_e32 v1, 0x5f7ffffc, v1
	v_mul_f32_e32 v5, 0x2f800000, v1
	v_trunc_f32_e32 v5, v5
	v_fmac_f32_e32 v1, 0xcf800000, v5
	v_cvt_u32_f32_e32 v5, v5
	v_cvt_u32_f32_e32 v1, v1
	v_mul_lo_u32 v8, s2, v5
	v_mul_hi_u32 v10, s2, v1
	v_mul_lo_u32 v9, s3, v1
	v_add_u32_e32 v10, v10, v8
	v_mul_lo_u32 v12, s2, v1
	v_add_u32_e32 v13, v10, v9
	v_mul_hi_u32 v8, v1, v12
	v_mul_hi_u32 v11, v1, v13
	v_mul_lo_u32 v10, v1, v13
	v_mov_b32_e32 v9, v4
	v_lshl_add_u64 v[8:9], v[8:9], 0, v[10:11]
	v_mul_hi_u32 v11, v5, v12
	v_mul_lo_u32 v12, v5, v12
	v_add_co_u32_e32 v8, vcc, v8, v12
	v_mul_hi_u32 v10, v5, v13
	s_nop 0
	v_addc_co_u32_e32 v8, vcc, v9, v11, vcc
	v_mov_b32_e32 v9, v4
	s_nop 0
	v_addc_co_u32_e32 v11, vcc, 0, v10, vcc
	v_mul_lo_u32 v10, v5, v13
	v_lshl_add_u64 v[8:9], v[8:9], 0, v[10:11]
	v_add_co_u32_e32 v1, vcc, v1, v8
	v_mul_lo_u32 v10, s2, v1
	s_nop 0
	v_addc_co_u32_e32 v5, vcc, v5, v9, vcc
	v_mul_lo_u32 v8, s2, v5
	v_mul_hi_u32 v9, s2, v1
	v_add_u32_e32 v8, v9, v8
	v_mul_lo_u32 v9, s3, v1
	v_add_u32_e32 v12, v8, v9
	v_mul_hi_u32 v14, v5, v10
	v_mul_lo_u32 v15, v5, v10
	v_mul_hi_u32 v9, v1, v12
	v_mul_lo_u32 v8, v1, v12
	v_mul_hi_u32 v10, v1, v10
	v_mov_b32_e32 v11, v4
	v_lshl_add_u64 v[8:9], v[10:11], 0, v[8:9]
	v_add_co_u32_e32 v8, vcc, v8, v15
	v_mul_hi_u32 v13, v5, v12
	s_nop 0
	v_addc_co_u32_e32 v8, vcc, v9, v14, vcc
	v_mul_lo_u32 v10, v5, v12
	s_nop 0
	v_addc_co_u32_e32 v11, vcc, 0, v13, vcc
	v_mov_b32_e32 v9, v4
	v_lshl_add_u64 v[8:9], v[8:9], 0, v[10:11]
	v_add_co_u32_e32 v1, vcc, v1, v8
	v_mul_hi_u32 v10, v6, v1
	s_nop 0
	v_addc_co_u32_e32 v5, vcc, v5, v9, vcc
	v_mad_u64_u32 v[8:9], s[2:3], v6, v5, 0
	v_mov_b32_e32 v11, v4
	v_lshl_add_u64 v[8:9], v[10:11], 0, v[8:9]
	v_mad_u64_u32 v[12:13], s[2:3], v7, v1, 0
	v_add_co_u32_e32 v1, vcc, v8, v12
	v_mad_u64_u32 v[10:11], s[2:3], v7, v5, 0
	s_nop 0
	v_addc_co_u32_e32 v8, vcc, v9, v13, vcc
	v_mov_b32_e32 v9, v4
	s_nop 0
	v_addc_co_u32_e32 v11, vcc, 0, v11, vcc
	v_lshl_add_u64 v[8:9], v[8:9], 0, v[10:11]
	v_mul_lo_u32 v1, s29, v8
	v_mul_lo_u32 v5, s28, v9
	v_mad_u64_u32 v[10:11], s[2:3], s28, v8, 0
	v_add3_u32 v1, v11, v5, v1
	v_sub_u32_e32 v5, v7, v1
	v_mov_b32_e32 v11, s29
	v_sub_co_u32_e32 v14, vcc, v6, v10
	v_lshl_add_u64 v[12:13], v[8:9], 0, 1
	s_nop 0
	v_subb_co_u32_e64 v5, s[2:3], v5, v11, vcc
	v_subrev_co_u32_e64 v10, s[2:3], s28, v14
	v_subb_co_u32_e32 v1, vcc, v7, v1, vcc
	s_nop 0
	v_subbrev_co_u32_e64 v5, s[2:3], 0, v5, s[2:3]
	v_cmp_le_u32_e64 s[2:3], s29, v5
	v_cmp_le_u32_e32 vcc, s29, v1
	s_nop 0
	v_cndmask_b32_e64 v11, 0, -1, s[2:3]
	v_cmp_le_u32_e64 s[2:3], s28, v10
	s_nop 1
	v_cndmask_b32_e64 v10, 0, -1, s[2:3]
	v_cmp_eq_u32_e64 s[2:3], s29, v5
	s_nop 1
	v_cndmask_b32_e64 v5, v11, v10, s[2:3]
	v_lshl_add_u64 v[10:11], v[8:9], 0, 2
	v_cmp_ne_u32_e64 s[2:3], 0, v5
	s_nop 1
	v_cndmask_b32_e64 v5, v13, v11, s[2:3]
	v_cndmask_b32_e64 v11, 0, -1, vcc
	v_cmp_le_u32_e32 vcc, s28, v14
	s_nop 1
	v_cndmask_b32_e64 v13, 0, -1, vcc
	v_cmp_eq_u32_e32 vcc, s29, v1
	s_nop 1
	v_cndmask_b32_e32 v1, v11, v13, vcc
	v_cmp_ne_u32_e32 vcc, 0, v1
	v_cndmask_b32_e64 v1, v12, v10, s[2:3]
	s_nop 0
	v_cndmask_b32_e32 v31, v9, v5, vcc
	v_cndmask_b32_e32 v30, v8, v1, vcc
.LBB0_4:                                ;   in Loop: Header=BB0_2 Depth=1
	s_andn2_saveexec_b64 s[2:3], s[30:31]
	s_cbranch_execz .LBB0_6
; %bb.5:                                ;   in Loop: Header=BB0_2 Depth=1
	v_cvt_f32_u32_e32 v1, s28
	s_sub_i32 s30, 0, s28
	v_mov_b32_e32 v31, v4
	v_rcp_iflag_f32_e32 v1, v1
	s_nop 0
	v_mul_f32_e32 v1, 0x4f7ffffe, v1
	v_cvt_u32_f32_e32 v1, v1
	v_mul_lo_u32 v5, s30, v1
	v_mul_hi_u32 v5, v1, v5
	v_add_u32_e32 v1, v1, v5
	v_mul_hi_u32 v1, v6, v1
	v_mul_lo_u32 v5, v1, s28
	v_sub_u32_e32 v5, v6, v5
	v_add_u32_e32 v8, 1, v1
	v_subrev_u32_e32 v9, s28, v5
	v_cmp_le_u32_e32 vcc, s28, v5
	s_nop 1
	v_cndmask_b32_e32 v5, v5, v9, vcc
	v_cndmask_b32_e32 v1, v1, v8, vcc
	v_add_u32_e32 v8, 1, v1
	v_cmp_le_u32_e32 vcc, s28, v5
	s_nop 1
	v_cndmask_b32_e32 v30, v1, v8, vcc
.LBB0_6:                                ;   in Loop: Header=BB0_2 Depth=1
	s_or_b64 exec, exec, s[2:3]
	v_mad_u64_u32 v[8:9], s[2:3], v30, s28, 0
	s_load_dwordx2 s[2:3], s[22:23], 0x0
	v_mul_lo_u32 v1, v31, s28
	v_mul_lo_u32 v5, v30, s29
	s_load_dwordx2 s[28:29], s[20:21], 0x0
	s_add_u32 s26, s26, 1
	v_add3_u32 v1, v9, v5, v1
	v_sub_co_u32_e32 v5, vcc, v6, v8
	s_addc_u32 s27, s27, 0
	s_nop 0
	v_subb_co_u32_e32 v1, vcc, v7, v1, vcc
	s_add_u32 s20, s20, 8
	s_waitcnt lgkmcnt(0)
	v_mul_lo_u32 v6, s2, v1
	v_mul_lo_u32 v7, s3, v5
	v_mad_u64_u32 v[2:3], s[2:3], s2, v5, v[2:3]
	s_addc_u32 s21, s21, 0
	v_add3_u32 v3, v7, v3, v6
	v_mul_lo_u32 v1, s28, v1
	v_mul_lo_u32 v6, s29, v5
	v_mad_u64_u32 v[28:29], s[2:3], s28, v5, v[28:29]
	s_add_u32 s22, s22, 8
	v_add3_u32 v29, v6, v29, v1
	s_addc_u32 s23, s23, 0
	v_mov_b64_e32 v[6:7], s[10:11]
	s_add_u32 s24, s24, 8
	v_cmp_ge_u64_e32 vcc, s[26:27], v[6:7]
	s_addc_u32 s25, s25, 0
	s_cbranch_vccnz .LBB0_9
; %bb.7:                                ;   in Loop: Header=BB0_2 Depth=1
	v_mov_b64_e32 v[6:7], v[30:31]
	s_branch .LBB0_2
.LBB0_8:
	v_mov_b64_e32 v[28:29], v[2:3]
	v_mov_b64_e32 v[30:31], v[6:7]
.LBB0_9:
	s_load_dwordx2 s[0:1], s[0:1], 0x28
	s_lshl_b64 s[10:11], s[10:11], 3
	s_add_u32 s2, s14, s10
	s_addc_u32 s3, s15, s11
                                        ; implicit-def: $vgpr32
                                        ; implicit-def: $vgpr33
	s_waitcnt lgkmcnt(0)
	v_cmp_gt_u64_e32 vcc, s[0:1], v[30:31]
	v_cmp_le_u64_e64 s[0:1], s[0:1], v[30:31]
	s_and_saveexec_b64 s[14:15], s[0:1]
	s_xor_b64 s[0:1], exec, s[14:15]
; %bb.10:
	s_mov_b32 s14, 0x4104105
	v_mul_hi_u32 v1, v0, s14
	v_mul_u32_u24_e32 v1, 63, v1
	v_sub_u32_e32 v32, v0, v1
	v_add_u32_e32 v33, 63, v32
                                        ; implicit-def: $vgpr0
                                        ; implicit-def: $vgpr2_vgpr3
; %bb.11:
	s_andn2_saveexec_b64 s[0:1], s[0:1]
	s_cbranch_execz .LBB0_13
; %bb.12:
	s_add_u32 s10, s12, s10
	s_addc_u32 s11, s13, s11
	s_load_dwordx2 s[10:11], s[10:11], 0x0
	s_mov_b32 s12, 0x4104105
	s_waitcnt lgkmcnt(0)
	v_mul_lo_u32 v1, s11, v30
	v_mul_lo_u32 v6, s10, v31
	v_mad_u64_u32 v[4:5], s[10:11], s10, v30, 0
	v_add3_u32 v5, v5, v6, v1
	v_mul_hi_u32 v1, v0, s12
	v_mul_u32_u24_e32 v1, 63, v1
	v_sub_u32_e32 v32, v0, v1
	v_mad_u64_u32 v[0:1], s[10:11], s18, v32, 0
	v_mov_b32_e32 v6, v1
	v_lshl_add_u64 v[4:5], v[4:5], 3, s[4:5]
	v_add_u32_e32 v33, 63, v32
	v_mad_u64_u32 v[6:7], s[10:11], s19, v32, v[6:7]
	v_lshl_add_u64 v[2:3], v[2:3], 3, v[4:5]
	v_mad_u64_u32 v[4:5], s[4:5], s18, v33, 0
	v_mov_b32_e32 v1, v6
	v_mov_b32_e32 v6, v5
	v_mad_u64_u32 v[6:7], s[4:5], s19, v33, v[6:7]
	v_add_u32_e32 v9, 0x7e, v32
	v_mov_b32_e32 v5, v6
	v_mad_u64_u32 v[6:7], s[4:5], s18, v9, 0
	v_mov_b32_e32 v8, v7
	v_mad_u64_u32 v[8:9], s[4:5], s19, v9, v[8:9]
	v_add_u32_e32 v11, 0xbd, v32
	v_mov_b32_e32 v7, v8
	v_mad_u64_u32 v[8:9], s[4:5], s18, v11, 0
	v_mov_b32_e32 v10, v9
	v_mad_u64_u32 v[10:11], s[4:5], s19, v11, v[10:11]
	v_lshl_add_u64 v[0:1], v[0:1], 3, v[2:3]
	v_lshl_add_u64 v[4:5], v[4:5], 3, v[2:3]
	v_mov_b32_e32 v9, v10
	v_lshl_add_u64 v[6:7], v[6:7], 3, v[2:3]
	v_lshl_add_u64 v[8:9], v[8:9], 3, v[2:3]
	global_load_dwordx2 v[10:11], v[0:1], off
	global_load_dwordx2 v[12:13], v[4:5], off
	;; [unrolled: 1-line block ×4, first 2 shown]
	v_add_u32_e32 v5, 0xfc, v32
	v_mad_u64_u32 v[0:1], s[4:5], s18, v5, 0
	v_mov_b32_e32 v4, v1
	v_mad_u64_u32 v[4:5], s[4:5], s19, v5, v[4:5]
	v_add_u32_e32 v7, 0x13b, v32
	v_mov_b32_e32 v1, v4
	v_mad_u64_u32 v[4:5], s[4:5], s18, v7, 0
	v_mov_b32_e32 v6, v5
	v_mad_u64_u32 v[6:7], s[4:5], s19, v7, v[6:7]
	v_add_u32_e32 v9, 0x17a, v32
	v_mov_b32_e32 v5, v6
	;; [unrolled: 5-line block ×3, first 2 shown]
	v_mad_u64_u32 v[8:9], s[4:5], s18, v19, 0
	v_mov_b32_e32 v18, v9
	v_mad_u64_u32 v[18:19], s[4:5], s19, v19, v[18:19]
	v_lshl_add_u64 v[0:1], v[0:1], 3, v[2:3]
	v_lshl_add_u64 v[4:5], v[4:5], 3, v[2:3]
	v_mov_b32_e32 v9, v18
	v_lshl_add_u64 v[6:7], v[6:7], 3, v[2:3]
	v_lshl_add_u64 v[8:9], v[8:9], 3, v[2:3]
	global_load_dwordx2 v[18:19], v[0:1], off
	global_load_dwordx2 v[20:21], v[4:5], off
	;; [unrolled: 1-line block ×4, first 2 shown]
	v_add_u32_e32 v5, 0x1f8, v32
	v_mad_u64_u32 v[0:1], s[4:5], s18, v5, 0
	v_mov_b32_e32 v4, v1
	v_mad_u64_u32 v[4:5], s[4:5], s19, v5, v[4:5]
	v_mov_b32_e32 v1, v4
	v_lshl_add_u64 v[0:1], v[0:1], 3, v[2:3]
	global_load_dwordx2 v[0:1], v[0:1], off
	v_lshl_add_u32 v2, v32, 3, 0
	v_add_u32_e32 v3, 0x400, v2
	s_waitcnt vmcnt(7)
	ds_write2_b64 v2, v[10:11], v[12:13] offset1:63
	s_waitcnt vmcnt(5)
	ds_write2_b64 v2, v[14:15], v[16:17] offset0:126 offset1:189
	s_waitcnt vmcnt(3)
	ds_write2_b64 v3, v[18:19], v[20:21] offset0:124 offset1:187
	v_add_u32_e32 v3, 0x800, v2
	s_waitcnt vmcnt(1)
	ds_write2_b64 v3, v[22:23], v[24:25] offset0:122 offset1:185
	s_waitcnt vmcnt(0)
	ds_write_b64 v2, v[0:1] offset:4032
.LBB0_13:
	s_or_b64 exec, exec, s[0:1]
	v_lshl_add_u32 v34, v32, 3, 0
	v_add_u32_e32 v35, 0x400, v34
	s_load_dwordx2 s[2:3], s[2:3], 0x0
	s_waitcnt lgkmcnt(0)
	; wave barrier
	s_waitcnt lgkmcnt(0)
	ds_read2_b64 v[4:7], v34 offset0:81 offset1:144
	ds_read2_b64 v[0:3], v34 offset0:162 offset1:225
	;; [unrolled: 1-line block ×3, first 2 shown]
	v_add_u32_e32 v12, 0xc00, v34
	v_add_u32_e32 v36, 0x800, v34
	ds_read2_b64 v[16:19], v12 offset0:102 offset1:165
	ds_read2_b64 v[12:15], v36 offset0:149 offset1:212
	;; [unrolled: 1-line block ×3, first 2 shown]
	ds_read2_b64 v[24:27], v34 offset1:63
	s_mov_b32 s18, 0xbeae86e6
	s_waitcnt lgkmcnt(3)
	v_pk_add_f32 v[38:39], v[4:5], v[16:17]
	s_waitcnt lgkmcnt(2)
	v_pk_add_f32 v[40:41], v[0:1], v[12:13]
	;; [unrolled: 2-line block ×3, first 2 shown]
	v_pk_add_f32 v[44:45], v[40:41], v[38:39]
	v_pk_add_f32 v[4:5], v[4:5], v[16:17] neg_lo:[0,1] neg_hi:[0,1]
	v_pk_add_f32 v[12:13], v[0:1], v[12:13] neg_lo:[0,1] neg_hi:[0,1]
	v_pk_add_f32 v[0:1], v[20:21], v[8:9] neg_lo:[0,1] neg_hi:[0,1]
	v_mov_b32_e32 v8, v42
	v_mov_b32_e32 v9, v39
	;; [unrolled: 1-line block ×4, first 2 shown]
	v_pk_add_f32 v[44:45], v[42:43], v[44:45]
	v_pk_add_f32 v[8:9], v[8:9], v[16:17] neg_lo:[0,1] neg_hi:[0,1]
	v_mov_b32_e32 v16, v38
	v_mov_b32_e32 v43, v41
	v_pk_add_f32 v[16:17], v[16:17], v[42:43] neg_lo:[0,1] neg_hi:[0,1]
	v_mov_b32_e32 v42, v1
	v_mov_b32_e32 v43, v4
	;; [unrolled: 1-line block ×4, first 2 shown]
	s_mov_b32 s20, 0x3d64c772
	s_mov_b32 s19, 0x3f08b237
	v_pk_add_f32 v[20:21], v[0:1], v[12:13]
	v_pk_add_f32 v[42:43], v[42:43], v[46:47] neg_lo:[0,1] neg_hi:[0,1]
	v_mov_b32_e32 v46, v5
	v_mov_b32_e32 v0, v1
	;; [unrolled: 1-line block ×3, first 2 shown]
	s_mov_b32 s21, 0x3f4a47b2
	s_mov_b32 s22, s19
	;; [unrolled: 1-line block ×3, first 2 shown]
	s_waitcnt lgkmcnt(0)
	v_pk_add_f32 v[24:25], v[24:25], v[44:45]
	v_pk_add_f32 v[46:47], v[46:47], v[0:1] neg_lo:[0,1] neg_hi:[0,1]
	v_pk_add_f32 v[20:21], v[20:21], v[4:5]
	s_mov_b32 s10, 0xbf955555
	v_pk_mul_f32 v[8:9], v[8:9], s[20:21]
	s_mov_b32 s26, s21
	s_mov_b32 s27, s20
	;; [unrolled: 1-line block ×3, first 2 shown]
	v_pk_mul_f32 v[42:43], v[42:43], s[22:23]
	v_pk_mul_f32 v[0:1], v[20:21], s[4:5] op_sel_hi:[1,0]
	v_pk_fma_f32 v[44:45], v[44:45], s[10:11], v[24:25] op_sel_hi:[1,0,1]
	v_pk_fma_f32 v[48:49], v[16:17], s[26:27], v[8:9]
	v_pk_fma_f32 v[50:51], v[46:47], s[18:19], v[42:43]
	v_pk_add_f32 v[48:49], v[48:49], v[44:45]
	v_pk_add_f32 v[0:1], v[0:1], v[50:51] op_sel:[1,0] op_sel_hi:[0,1]
	v_pk_add_f32 v[50:51], v[48:49], v[0:1]
	v_pk_add_f32 v[48:49], v[48:49], v[0:1] neg_lo:[0,1] neg_hi:[0,1]
	v_mov_b32_e32 v52, v50
	v_mov_b32_e32 v53, v49
	v_mad_u32_u24 v1, v32, 48, v34
	s_waitcnt lgkmcnt(0)
	; wave barrier
	ds_write2_b64 v1, v[24:25], v[52:53] offset1:1
	v_pk_mul_f32 v[16:17], v[16:17], s[26:27]
	v_pk_mul_f32 v[24:25], v[46:47], s[18:19]
	v_pk_add_f32 v[38:39], v[40:41], v[38:39] neg_lo:[0,1] neg_hi:[0,1]
	s_mov_b32 s12, 0x3f3bfb3b
	v_pk_add_f32 v[4:5], v[12:13], v[4:5] neg_lo:[0,1] neg_hi:[0,1]
	s_mov_b32 s14, 0xbf5ff5aa
	v_mov_b32_e32 v12, v16
	v_mov_b32_e32 v13, v9
	v_mov_b32_e32 v40, v43
	v_mov_b32_e32 v41, v24
	v_mov_b32_e32 v9, v17
	v_mov_b32_e32 v16, v25
	v_mov_b32_e32 v17, v42
	v_pk_fma_f32 v[12:13], v[38:39], s[12:13], v[12:13] op_sel_hi:[1,0,1] neg_lo:[1,0,1] neg_hi:[1,0,1]
	v_pk_fma_f32 v[40:41], v[4:5], s[14:15], v[40:41] op_sel_hi:[1,0,1] neg_lo:[1,0,1] neg_hi:[1,0,1]
	;; [unrolled: 1-line block ×4, first 2 shown]
	v_pk_add_f32 v[12:13], v[12:13], v[44:45]
	v_pk_fma_f32 v[40:41], v[20:21], s[4:5], v[40:41] op_sel_hi:[1,0,1]
	v_pk_add_f32 v[8:9], v[8:9], v[44:45]
	v_pk_fma_f32 v[4:5], v[20:21], s[4:5], v[4:5] op_sel_hi:[1,0,1]
	v_pk_add_f32 v[46:47], v[12:13], v[40:41] op_sel:[0,1] op_sel_hi:[1,0]
	v_pk_add_f32 v[12:13], v[12:13], v[40:41] op_sel:[0,1] op_sel_hi:[1,0] neg_lo:[0,1] neg_hi:[0,1]
	v_pk_add_f32 v[16:17], v[8:9], v[4:5] op_sel:[0,1] op_sel_hi:[1,0] neg_lo:[0,1] neg_hi:[0,1]
	v_pk_add_f32 v[4:5], v[8:9], v[4:5] op_sel:[0,1] op_sel_hi:[1,0]
	v_mov_b32_e32 v8, v46
	v_mov_b32_e32 v9, v13
	;; [unrolled: 1-line block ×7, first 2 shown]
	v_cmp_gt_u32_e64 s[0:1], 18, v32
	ds_write2_b64 v1, v[8:9], v[20:21] offset0:2 offset1:3
	ds_write2_b64 v1, v[4:5], v[12:13] offset0:4 offset1:5
	ds_write_b64 v1, v[48:49] offset:48
	s_and_saveexec_b64 s[24:25], s[0:1]
	s_cbranch_execz .LBB0_15
; %bb.14:
	v_pk_add_f32 v[4:5], v[6:7], v[18:19]
	v_pk_add_f32 v[12:13], v[2:3], v[14:15]
	;; [unrolled: 1-line block ×4, first 2 shown]
	v_mov_b32_e32 v38, v8
	v_pk_add_f32 v[16:17], v[8:9], v[16:17]
	v_mov_b32_e32 v39, v5
	v_pk_add_f32 v[20:21], v[26:27], v[16:17]
	v_mov_b32_e32 v26, v8
	v_mov_b32_e32 v8, v12
	v_pk_add_f32 v[6:7], v[6:7], v[18:19] neg_lo:[0,1] neg_hi:[0,1]
	v_pk_add_f32 v[10:11], v[22:23], v[10:11] neg_lo:[0,1] neg_hi:[0,1]
	;; [unrolled: 1-line block ×3, first 2 shown]
	v_mov_b32_e32 v25, v9
	v_pk_add_f32 v[8:9], v[38:39], v[8:9] neg_lo:[0,1] neg_hi:[0,1]
	v_mov_b32_e32 v22, v11
	v_mov_b32_e32 v23, v6
	;; [unrolled: 1-line block ×10, first 2 shown]
	v_pk_add_f32 v[22:23], v[22:23], v[38:39] neg_lo:[0,1] neg_hi:[0,1]
	v_pk_add_f32 v[10:11], v[10:11], v[2:3]
	v_pk_add_f32 v[24:25], v[24:25], v[26:27] neg_lo:[0,1] neg_hi:[0,1]
	v_pk_mul_f32 v[8:9], v[8:9], s[20:21]
	v_pk_add_f32 v[14:15], v[14:15], v[18:19] neg_lo:[0,1] neg_hi:[0,1]
	v_pk_mul_f32 v[22:23], v[22:23], s[22:23]
	v_pk_add_f32 v[10:11], v[10:11], v[6:7]
	v_pk_mul_f32 v[26:27], v[24:25], s[26:27]
	v_pk_fma_f32 v[24:25], v[24:25], s[26:27], v[8:9]
	v_pk_mul_f32 v[18:19], v[14:15], s[18:19]
	v_pk_fma_f32 v[14:15], v[14:15], s[18:19], v[22:23]
	v_pk_mul_f32 v[38:39], v[10:11], s[4:5] op_sel_hi:[1,0]
	v_pk_fma_f32 v[16:17], v[16:17], s[10:11], v[20:21] op_sel_hi:[1,0,1]
	v_pk_add_f32 v[14:15], v[38:39], v[14:15] op_sel:[1,0] op_sel_hi:[0,1]
	v_pk_add_f32 v[24:25], v[24:25], v[16:17]
	v_pk_add_f32 v[4:5], v[12:13], v[4:5] neg_lo:[0,1] neg_hi:[0,1]
	v_mov_b32_e32 v12, v26
	v_mov_b32_e32 v13, v9
	v_pk_add_f32 v[2:3], v[2:3], v[6:7] neg_lo:[0,1] neg_hi:[0,1]
	v_mov_b32_e32 v6, v23
	v_mov_b32_e32 v7, v18
	v_pk_add_f32 v[38:39], v[24:25], v[14:15]
	v_pk_add_f32 v[14:15], v[24:25], v[14:15] neg_lo:[0,1] neg_hi:[0,1]
	v_pk_fma_f32 v[12:13], v[4:5], s[12:13], v[12:13] op_sel_hi:[1,0,1] neg_lo:[1,0,1] neg_hi:[1,0,1]
	v_pk_fma_f32 v[6:7], v[2:3], s[14:15], v[6:7] op_sel_hi:[1,0,1] neg_lo:[1,0,1] neg_hi:[1,0,1]
	v_mad_i32_i24 v0, v33, 56, 0
	v_mov_b32_e32 v24, v38
	v_mov_b32_e32 v25, v15
	v_pk_fma_f32 v[6:7], v[10:11], s[4:5], v[6:7] op_sel_hi:[1,0,1]
	v_pk_add_f32 v[12:13], v[12:13], v[16:17]
	ds_write2_b64 v0, v[20:21], v[24:25] offset1:1
	v_pk_add_f32 v[20:21], v[12:13], v[6:7] op_sel:[0,1] op_sel_hi:[1,0]
	v_pk_add_f32 v[6:7], v[12:13], v[6:7] op_sel:[0,1] op_sel_hi:[1,0] neg_lo:[0,1] neg_hi:[0,1]
	v_mov_b32_e32 v12, v19
	v_mov_b32_e32 v13, v22
	;; [unrolled: 1-line block ×3, first 2 shown]
	v_pk_fma_f32 v[2:3], v[2:3], s[14:15], v[12:13] op_sel_hi:[1,0,1] neg_lo:[0,0,1] neg_hi:[0,0,1]
	v_pk_fma_f32 v[4:5], v[4:5], s[12:13], v[8:9] op_sel_hi:[1,0,1] neg_lo:[0,0,1] neg_hi:[0,0,1]
	v_pk_fma_f32 v[2:3], v[10:11], s[4:5], v[2:3] op_sel_hi:[1,0,1]
	v_pk_add_f32 v[4:5], v[4:5], v[16:17]
	v_mov_b32_e32 v15, v39
	v_pk_add_f32 v[8:9], v[4:5], v[2:3] op_sel:[0,1] op_sel_hi:[1,0] neg_lo:[0,1] neg_hi:[0,1]
	v_pk_add_f32 v[2:3], v[4:5], v[2:3] op_sel:[0,1] op_sel_hi:[1,0]
	v_mov_b32_e32 v4, v20
	v_mov_b32_e32 v5, v7
	;; [unrolled: 1-line block ×6, first 2 shown]
	ds_write2_b64 v0, v[4:5], v[10:11] offset0:2 offset1:3
	ds_write2_b64 v0, v[2:3], v[6:7] offset0:4 offset1:5
	ds_write_b64 v0, v[14:15] offset:48
.LBB0_15:
	s_or_b64 exec, exec, s[24:25]
	v_mov_b32_e32 v0, 37
	v_mul_lo_u16_sdwa v0, v32, v0 dst_sel:DWORD dst_unused:UNUSED_PAD src0_sel:BYTE_0 src1_sel:DWORD
	v_sub_u16_sdwa v2, v32, v0 dst_sel:DWORD dst_unused:UNUSED_PAD src0_sel:DWORD src1_sel:BYTE_1
	v_lshrrev_b16_e32 v2, 1, v2
	v_and_b32_e32 v2, 0x7f, v2
	v_add_u16_sdwa v0, v2, v0 dst_sel:DWORD dst_unused:UNUSED_PAD src0_sel:DWORD src1_sel:BYTE_1
	v_lshrrev_b16_e32 v37, 2, v0
	v_mul_lo_u16_e32 v0, 7, v37
	v_sub_u16_e32 v46, v32, v0
	v_mov_b32_e32 v0, 6
	v_lshlrev_b32_sdwa v0, v0, v46 dst_sel:DWORD dst_unused:UNUSED_PAD src0_sel:DWORD src1_sel:BYTE_0
	s_waitcnt lgkmcnt(0)
	; wave barrier
	s_waitcnt lgkmcnt(0)
	global_load_dwordx4 v[2:5], v0, s[8:9]
	global_load_dwordx4 v[6:9], v0, s[8:9] offset:16
	global_load_dwordx4 v[10:13], v0, s[8:9] offset:32
	;; [unrolled: 1-line block ×3, first 2 shown]
	s_movk_i32 s1, 0xffd0
	ds_read2_b64 v[18:21], v34 offset1:189
	ds_read2_b64 v[22:25], v35 offset0:124 offset1:187
	ds_read2_b64 v[38:41], v36 offset0:122 offset1:185
	v_mad_i32_i24 v57, v32, s1, v1
	v_lshl_add_u32 v0, v33, 3, 0
	ds_read_b64 v[26:27], v57 offset:1008
	ds_read_b64 v[42:43], v0
	ds_read_b64 v[44:45], v34 offset:4032
	v_mov_b32_e32 v47, 3
	v_mul_u32_u24_e32 v1, 0x1f8, v37
	v_lshlrev_b32_sdwa v37, v47, v46 dst_sel:DWORD dst_unused:UNUSED_PAD src0_sel:DWORD src1_sel:BYTE_0
	s_mov_b32 s12, 0x3f248dbb
	s_mov_b32 s13, 0x3f7c1c5c
	;; [unrolled: 1-line block ×8, first 2 shown]
	v_add3_u32 v1, 0, v1, v37
	s_waitcnt lgkmcnt(0)
	; wave barrier
	s_waitcnt vmcnt(3) lgkmcnt(0)
	v_pk_mul_f32 v[46:47], v[2:3], v[42:43] op_sel:[0,1]
	v_pk_mul_f32 v[48:49], v[4:5], v[26:27] op_sel:[0,1]
	s_waitcnt vmcnt(2)
	v_pk_mul_f32 v[50:51], v[6:7], v[20:21] op_sel:[0,1]
	v_pk_mul_f32 v[52:53], v[8:9], v[22:23] op_sel:[0,1]
	s_waitcnt vmcnt(1)
	v_pk_mul_f32 v[54:55], v[10:11], v[24:25] op_sel:[0,1]
	v_mov_b32_e32 v56, v13
	s_waitcnt vmcnt(0)
	v_pk_mul_f32 v[58:59], v[40:41], v[14:15] op_sel:[0,1]
	v_mov_b32_e32 v60, v17
	v_pk_fma_f32 v[62:63], v[2:3], v[42:43], v[46:47] op_sel:[0,0,1] op_sel_hi:[1,1,0]
	v_pk_fma_f32 v[2:3], v[2:3], v[42:43], v[46:47] op_sel:[0,0,1] op_sel_hi:[1,0,0] neg_lo:[1,0,0] neg_hi:[1,0,0]
	v_pk_fma_f32 v[42:43], v[4:5], v[26:27], v[48:49] op_sel:[0,0,1] op_sel_hi:[1,1,0]
	v_pk_fma_f32 v[4:5], v[4:5], v[26:27], v[48:49] op_sel:[0,0,1] op_sel_hi:[1,0,0] neg_lo:[1,0,0] neg_hi:[1,0,0]
	;; [unrolled: 2-line block ×5, first 2 shown]
	v_pk_mul_f32 v[24:25], v[38:39], v[56:57] op_sel_hi:[1,0]
	v_pk_fma_f32 v[46:47], v[40:41], v[14:15], v[58:59] op_sel:[0,0,1] op_sel_hi:[1,1,0]
	v_pk_fma_f32 v[14:15], v[40:41], v[14:15], v[58:59] op_sel:[0,0,1] op_sel_hi:[1,0,0] neg_lo:[0,0,1] neg_hi:[0,0,1]
	v_pk_mul_f32 v[40:41], v[44:45], v[60:61] op_sel_hi:[1,0]
	v_mov_b32_e32 v27, v7
	v_mov_b32_e32 v21, v9
	v_mov_b32_e32 v23, v11
	v_pk_fma_f32 v[6:7], v[38:39], v[12:13], v[24:25] op_sel:[0,0,1] op_sel_hi:[1,1,0]
	v_pk_fma_f32 v[8:9], v[38:39], v[12:13], v[24:25] op_sel:[0,0,1] op_sel_hi:[1,0,0] neg_lo:[0,0,1] neg_hi:[0,0,1]
	v_pk_fma_f32 v[10:11], v[44:45], v[16:17], v[40:41] op_sel:[0,0,1] op_sel_hi:[1,1,0]
	v_pk_fma_f32 v[12:13], v[44:45], v[16:17], v[40:41] op_sel:[0,0,1] op_sel_hi:[1,0,0] neg_lo:[0,0,1] neg_hi:[0,0,1]
	v_mov_b32_e32 v63, v3
	v_mov_b32_e32 v43, v5
	;; [unrolled: 1-line block ×12, first 2 shown]
	v_pk_add_f32 v[14:15], v[42:43], v[46:47]
	v_mov_b32_e32 v16, v13
	v_pk_add_f32 v[10:11], v[62:63], v[10:11]
	v_pk_add_f32 v[4:5], v[4:5], v[8:9] neg_lo:[0,1] neg_hi:[0,1]
	v_pk_add_f32 v[24:25], v[26:27], v[6:7]
	v_pk_add_f32 v[2:3], v[2:3], v[16:17] neg_lo:[0,1] neg_hi:[0,1]
	v_pk_add_f32 v[6:7], v[26:27], v[6:7] neg_lo:[0,1] neg_hi:[0,1]
	v_pk_add_f32 v[16:17], v[14:15], v[10:11]
	v_pk_mul_f32 v[26:27], v[4:5], s[14:15]
	v_pk_fma_f32 v[38:39], v[10:11], s[10:11], v[18:19] op_sel_hi:[1,0,1]
	s_mov_b32 s14, 0x3e31d0d4
	v_pk_add_f32 v[12:13], v[20:21], v[22:23] neg_lo:[0,1] neg_hi:[0,1]
	v_pk_mul_f32 v[6:7], v[6:7], s[0:1] op_sel_hi:[1,0]
	v_pk_add_f32 v[40:41], v[24:25], v[16:17]
	v_pk_fma_f32 v[26:27], v[2:3], s[12:13], v[26:27]
	v_pk_fma_f32 v[38:39], v[14:15], s[14:15], v[38:39] op_sel_hi:[1,0,1]
	v_pk_mul_f32 v[8:9], v[12:13], s[4:5] op_sel_hi:[1,0]
	v_pk_add_f32 v[40:41], v[20:21], v[40:41]
	v_pk_add_f32 v[26:27], v[6:7], v[26:27] op_sel:[1,0] op_sel_hi:[0,1]
	v_pk_fma_f32 v[38:39], v[24:25], 0.5, v[38:39] op_sel_hi:[1,0,1] neg_lo:[1,0,0] neg_hi:[1,0,0]
	v_pk_add_f32 v[20:21], v[20:21], v[22:23]
	v_pk_add_f32 v[40:41], v[22:23], v[40:41]
	v_pk_add_f32 v[8:9], v[8:9], v[26:27] op_sel:[1,0] op_sel_hi:[0,1]
	v_pk_fma_f32 v[22:23], v[20:21], s[18:19], v[38:39] op_sel_hi:[1,0,1] neg_lo:[1,0,0] neg_hi:[1,0,0]
	v_pk_add_f32 v[26:27], v[18:19], v[40:41]
	v_pk_add_f32 v[38:39], v[22:23], v[8:9] neg_lo:[0,1] neg_hi:[0,1]
	v_pk_add_f32 v[22:23], v[22:23], v[8:9]
	v_pk_fma_f32 v[40:41], v[20:21], s[10:11], v[18:19] op_sel_hi:[1,0,1]
	v_mov_b32_e32 v39, v23
	v_fma_f32 v22, 2.0, v8, v38
	v_fmac_f32_e32 v23, -2.0, v9
	ds_write2_b64 v1, v[26:27], v[38:39] offset1:7
	v_pk_mul_f32 v[8:9], v[12:13], s[12:13] op_sel_hi:[1,0]
	v_mov_b32_e32 v26, v2
	v_mov_b32_e32 v27, v5
	s_mov_b32 s12, s13
	v_pk_fma_f32 v[8:9], v[26:27], s[12:13], v[8:9] op_sel:[0,0,1] op_sel_hi:[1,0,0] neg_lo:[0,0,1] neg_hi:[0,0,1]
	v_pk_fma_f32 v[40:41], v[10:11], s[14:15], v[40:41] op_sel_hi:[1,0,1]
	v_pk_add_f32 v[8:9], v[8:9], v[6:7] op_sel:[0,1] op_sel_hi:[1,0] neg_lo:[0,1] neg_hi:[0,1]
	v_mov_b32_e32 v38, v4
	v_mov_b32_e32 v39, v3
	v_pk_fma_f32 v[40:41], v[24:25], 0.5, v[40:41] op_sel_hi:[1,0,1] neg_lo:[1,0,0] neg_hi:[1,0,0]
	v_pk_fma_f32 v[8:9], v[38:39], s[4:5], v[8:9] op_sel_hi:[1,0,1]
	v_pk_fma_f32 v[40:41], v[14:15], s[18:19], v[40:41] op_sel_hi:[1,0,1] neg_lo:[1,0,0] neg_hi:[1,0,0]
	s_nop 0
	v_pk_add_f32 v[42:43], v[40:41], v[8:9] neg_lo:[0,1] neg_hi:[0,1]
	v_pk_add_f32 v[40:41], v[40:41], v[8:9]
	s_nop 0
	v_fma_f32 v40, 2.0, v8, v42
	v_mov_b32_e32 v43, v41
	v_fmac_f32_e32 v41, -2.0, v9
	v_mov_b32_e32 v8, v5
	v_mov_b32_e32 v9, v2
	v_pk_add_f32 v[8:9], v[12:13], v[8:9]
	v_mov_b32_e32 v2, v3
	v_mov_b32_e32 v3, v4
	v_pk_add_f32 v[2:3], v[8:9], v[2:3] neg_lo:[0,1] neg_hi:[0,1]
	v_pk_add_f32 v[4:5], v[24:25], v[18:19]
	v_pk_add_f32 v[8:9], v[20:21], v[16:17]
	v_pk_mul_f32 v[2:3], v[2:3], s[0:1] op_sel_hi:[1,0]
	v_pk_fma_f32 v[4:5], v[8:9], 0.5, v[4:5] op_sel_hi:[1,0,1] neg_lo:[1,0,0] neg_hi:[1,0,0]
	s_nop 0
	v_pk_add_f32 v[8:9], v[4:5], v[2:3] op_sel:[0,1] op_sel_hi:[1,0] neg_lo:[0,1] neg_hi:[0,1]
	v_pk_add_f32 v[4:5], v[4:5], v[2:3] op_sel:[0,1] op_sel_hi:[1,0]
	s_nop 0
	v_mov_b32_e32 v9, v5
	v_fma_f32 v4, 2.0, v3, v8
	v_fmac_f32_e32 v5, -2.0, v2
	ds_write2_b64 v1, v[42:43], v[8:9] offset0:14 offset1:21
	v_pk_fma_f32 v[2:3], v[14:15], s[10:11], v[18:19] op_sel_hi:[1,0,1]
	s_mov_b32 s10, 0xbf248dbb
	v_pk_mul_f32 v[8:9], v[12:13], s[12:13] op_sel_hi:[1,0]
	v_pk_fma_f32 v[2:3], v[20:21], s[14:15], v[2:3] op_sel_hi:[1,0,1]
	v_pk_fma_f32 v[8:9], v[38:39], s[10:11], v[8:9] op_sel:[0,0,1] op_sel_hi:[1,0,0] neg_lo:[0,0,1] neg_hi:[0,0,1]
	v_pk_fma_f32 v[2:3], v[24:25], 0.5, v[2:3] op_sel_hi:[1,0,1] neg_lo:[1,0,0] neg_hi:[1,0,0]
	v_pk_add_f32 v[6:7], v[6:7], v[8:9] op_sel:[1,0] op_sel_hi:[0,1]
	v_pk_fma_f32 v[6:7], v[26:27], s[4:5], v[6:7] op_sel_hi:[1,0,1]
	v_pk_fma_f32 v[2:3], v[10:11], s[18:19], v[2:3] op_sel_hi:[1,0,1] neg_lo:[1,0,0] neg_hi:[1,0,0]
	s_nop 0
	v_pk_add_f32 v[8:9], v[2:3], v[6:7] neg_lo:[0,1] neg_hi:[0,1]
	v_pk_add_f32 v[2:3], v[2:3], v[6:7]
	s_nop 0
	v_fma_f32 v2, 2.0, v6, v8
	v_mov_b32_e32 v9, v3
	v_fmac_f32_e32 v3, -2.0, v7
	ds_write2_b64 v1, v[8:9], v[2:3] offset0:28 offset1:35
	ds_write2_b64 v1, v[4:5], v[40:41] offset0:42 offset1:49
	ds_write_b64 v1, v[22:23] offset:448
	v_lshlrev_b32_e32 v22, 1, v32
	v_mov_b32_e32 v23, 0
	v_lshl_add_u64 v[24:25], v[22:23], 3, s[8:9]
	s_waitcnt lgkmcnt(0)
	; wave barrier
	s_waitcnt lgkmcnt(0)
	global_load_dwordx4 v[2:5], v[24:25], off offset:448
	v_add_u32_e32 v1, 0x7e, v32
	v_mov_b32_e32 v6, 5
	v_mul_lo_u16_sdwa v6, v1, v6 dst_sel:DWORD dst_unused:UNUSED_PAD src0_sel:BYTE_0 src1_sel:DWORD
	v_sub_u16_sdwa v7, v1, v6 dst_sel:DWORD dst_unused:UNUSED_PAD src0_sel:DWORD src1_sel:BYTE_1
	v_lshrrev_b16_e32 v7, 1, v7
	v_and_b32_e32 v7, 0x7f, v7
	v_add_u16_sdwa v6, v7, v6 dst_sel:DWORD dst_unused:UNUSED_PAD src0_sel:DWORD src1_sel:BYTE_1
	v_lshrrev_b16_e32 v6, 5, v6
	v_mul_lo_u16_e32 v6, 63, v6
	v_sub_u16_e32 v6, v1, v6
	v_and_b32_e32 v22, 0xff, v6
	v_lshlrev_b32_e32 v6, 4, v22
	global_load_dwordx4 v[6:9], v6, s[8:9] offset:448
	ds_read2_b64 v[10:13], v34 offset1:189
	ds_read2_b64 v[14:17], v36 offset0:122 offset1:185
	ds_read2_b64 v[18:21], v35 offset0:124 offset1:187
	v_lshl_add_u32 v22, v22, 3, 0
	s_waitcnt vmcnt(1) lgkmcnt(2)
	v_pk_mul_f32 v[26:27], v[2:3], v[12:13] op_sel:[0,1]
	s_nop 0
	v_pk_fma_f32 v[38:39], v[2:3], v[12:13], v[26:27] op_sel:[0,0,1] op_sel_hi:[1,1,0]
	v_pk_fma_f32 v[12:13], v[2:3], v[12:13], v[26:27] op_sel:[0,0,1] op_sel_hi:[1,0,0] neg_lo:[1,0,0] neg_hi:[1,0,0]
	s_nop 0
	v_mov_b32_e32 v39, v13
	s_waitcnt lgkmcnt(1)
	v_pk_mul_f32 v[12:13], v[4:5], v[14:15] op_sel:[0,1]
	s_nop 0
	v_pk_fma_f32 v[26:27], v[4:5], v[14:15], v[12:13] op_sel:[0,0,1] op_sel_hi:[1,1,0]
	v_pk_fma_f32 v[12:13], v[4:5], v[14:15], v[12:13] op_sel:[0,0,1] op_sel_hi:[1,0,0] neg_lo:[1,0,0] neg_hi:[1,0,0]
	s_nop 0
	v_mov_b32_e32 v27, v13
	v_pk_add_f32 v[14:15], v[38:39], v[26:27]
	v_pk_add_f32 v[12:13], v[10:11], v[38:39]
	v_pk_fma_f32 v[10:11], v[14:15], 0.5, v[10:11] op_sel_hi:[1,0,1] neg_lo:[1,0,0] neg_hi:[1,0,0]
	v_pk_add_f32 v[14:15], v[38:39], v[26:27] neg_lo:[0,1] neg_hi:[0,1]
	v_pk_add_f32 v[12:13], v[12:13], v[26:27]
	v_pk_mul_f32 v[14:15], v[14:15], s[0:1] op_sel_hi:[1,0]
	s_nop 0
	v_pk_add_f32 v[26:27], v[10:11], v[14:15] op_sel:[0,1] op_sel_hi:[1,0] neg_lo:[0,1] neg_hi:[0,1]
	v_pk_add_f32 v[10:11], v[10:11], v[14:15] op_sel:[0,1] op_sel_hi:[1,0]
	s_waitcnt lgkmcnt(0)
	v_pk_mul_f32 v[14:15], v[2:3], v[18:19] op_sel:[0,1]
	s_nop 0
	v_pk_fma_f32 v[38:39], v[2:3], v[18:19], v[14:15] op_sel:[0,0,1] op_sel_hi:[1,1,0]
	v_pk_fma_f32 v[2:3], v[2:3], v[18:19], v[14:15] op_sel:[0,0,1] op_sel_hi:[1,0,0] neg_lo:[1,0,0] neg_hi:[1,0,0]
	ds_read_b64 v[18:19], v0
	v_mov_b32_e32 v39, v3
	v_pk_mul_f32 v[2:3], v[4:5], v[16:17] op_sel:[0,1]
	s_nop 0
	v_pk_fma_f32 v[14:15], v[4:5], v[16:17], v[2:3] op_sel:[0,0,1] op_sel_hi:[1,1,0]
	v_pk_fma_f32 v[2:3], v[4:5], v[16:17], v[2:3] op_sel:[0,0,1] op_sel_hi:[1,0,0] neg_lo:[1,0,0] neg_hi:[1,0,0]
	s_waitcnt lgkmcnt(0)
	v_pk_add_f32 v[16:17], v[18:19], v[38:39]
	v_mov_b32_e32 v15, v3
	ds_read_b64 v[2:3], v57 offset:1008
	ds_read_b64 v[4:5], v34 offset:4032
	v_pk_add_f32 v[16:17], v[16:17], v[14:15]
	v_pk_add_f32 v[40:41], v[38:39], v[14:15]
	v_pk_add_f32 v[14:15], v[38:39], v[14:15] neg_lo:[0,1] neg_hi:[0,1]
	v_pk_fma_f32 v[18:19], v[40:41], 0.5, v[18:19] op_sel_hi:[1,0,1] neg_lo:[1,0,0] neg_hi:[1,0,0]
	v_pk_mul_f32 v[14:15], v[14:15], s[0:1] op_sel_hi:[1,0]
	s_waitcnt lgkmcnt(0)
	v_pk_add_f32 v[38:39], v[18:19], v[14:15] op_sel:[0,1] op_sel_hi:[1,0] neg_lo:[0,1] neg_hi:[0,1]
	v_pk_add_f32 v[14:15], v[18:19], v[14:15] op_sel:[0,1] op_sel_hi:[1,0]
	s_waitcnt vmcnt(0)
	v_pk_mul_f32 v[18:19], v[6:7], v[20:21] op_sel:[0,1]
	; wave barrier
	s_nop 0
	v_pk_fma_f32 v[40:41], v[6:7], v[20:21], v[18:19] op_sel:[0,0,1] op_sel_hi:[1,1,0]
	v_pk_fma_f32 v[6:7], v[6:7], v[20:21], v[18:19] op_sel:[0,0,1] op_sel_hi:[1,0,0] neg_lo:[1,0,0] neg_hi:[1,0,0]
	s_nop 0
	v_mov_b32_e32 v6, v9
	v_mov_b32_e32 v41, v7
	v_pk_mul_f32 v[6:7], v[4:5], v[6:7] op_sel_hi:[1,0]
	s_nop 0
	v_pk_fma_f32 v[18:19], v[4:5], v[8:9], v[6:7] op_sel:[0,0,1] op_sel_hi:[1,1,0]
	v_pk_fma_f32 v[4:5], v[4:5], v[8:9], v[6:7] op_sel:[0,0,1] op_sel_hi:[1,0,0] neg_lo:[0,0,1] neg_hi:[0,0,1]
	v_mov_b32_e32 v6, v26
	v_mov_b32_e32 v7, v11
	;; [unrolled: 1-line block ×3, first 2 shown]
	ds_write2_b64 v34, v[12:13], v[6:7] offset1:63
	v_mov_b32_e32 v6, v38
	v_mov_b32_e32 v7, v15
	;; [unrolled: 1-line block ×3, first 2 shown]
	ds_write2_b64 v35, v[6:7], v[14:15] offset0:124 offset1:187
	v_pk_add_f32 v[6:7], v[40:41], v[18:19]
	v_pk_add_f32 v[4:5], v[2:3], v[40:41]
	v_pk_fma_f32 v[2:3], v[6:7], 0.5, v[2:3] op_sel_hi:[1,0,1] neg_lo:[1,0,0] neg_hi:[1,0,0]
	v_pk_add_f32 v[6:7], v[40:41], v[18:19] neg_lo:[0,1] neg_hi:[0,1]
	v_pk_add_f32 v[4:5], v[4:5], v[18:19]
	v_pk_mul_f32 v[6:7], v[6:7], s[0:1] op_sel_hi:[1,0]
	v_mov_b32_e32 v11, v27
	v_pk_add_f32 v[8:9], v[2:3], v[6:7] op_sel:[0,1] op_sel_hi:[1,0] neg_lo:[0,1] neg_hi:[0,1]
	v_pk_add_f32 v[2:3], v[2:3], v[6:7] op_sel:[0,1] op_sel_hi:[1,0]
	v_mov_b32_e32 v6, v8
	v_mov_b32_e32 v7, v3
	v_add_u32_e32 v3, 0x800, v22
	ds_write2_b64 v34, v[10:11], v[16:17] offset0:126 offset1:189
	ds_write2_b64 v3, v[4:5], v[6:7] offset0:122 offset1:185
	v_mov_b32_e32 v3, v9
	ds_write_b64 v22, v[2:3] offset:4032
	s_waitcnt lgkmcnt(0)
	; wave barrier
	s_waitcnt lgkmcnt(0)
	global_load_dwordx4 v[2:5], v[24:25], off offset:1456
	v_lshlrev_b32_e32 v22, 1, v33
	v_lshl_add_u64 v[14:15], v[22:23], 3, s[8:9]
	v_lshlrev_b32_e32 v22, 1, v1
	v_lshl_add_u64 v[16:17], v[22:23], 3, s[8:9]
	global_load_dwordx4 v[6:9], v[16:17], off offset:1456
	global_load_dwordx4 v[10:13], v[14:15], off offset:1456
	ds_read2_b64 v[14:17], v34 offset1:189
	ds_read2_b64 v[18:21], v36 offset0:122 offset1:185
	ds_read2_b64 v[22:25], v35 offset0:124 offset1:187
	s_waitcnt vmcnt(2) lgkmcnt(2)
	v_pk_mul_f32 v[26:27], v[2:3], v[16:17] op_sel:[0,1]
	s_nop 0
	v_pk_fma_f32 v[38:39], v[2:3], v[16:17], v[26:27] op_sel:[0,0,1] op_sel_hi:[1,1,0]
	v_pk_fma_f32 v[2:3], v[2:3], v[16:17], v[26:27] op_sel:[0,0,1] op_sel_hi:[1,0,0] neg_lo:[1,0,0] neg_hi:[1,0,0]
	ds_read_b64 v[16:17], v34 offset:4032
	s_waitcnt lgkmcnt(2)
	v_pk_mul_f32 v[36:37], v[4:5], v[18:19] op_sel:[0,1]
	v_mov_b32_e32 v39, v3
	v_pk_fma_f32 v[2:3], v[4:5], v[18:19], v[36:37] op_sel:[0,0,1] op_sel_hi:[1,1,0]
	v_pk_fma_f32 v[4:5], v[4:5], v[18:19], v[36:37] op_sel:[0,0,1] op_sel_hi:[1,0,0] neg_lo:[1,0,0] neg_hi:[1,0,0]
	s_waitcnt vmcnt(1) lgkmcnt(1)
	v_pk_mul_f32 v[18:19], v[6:7], v[24:25] op_sel:[0,1]
	v_mov_b32_e32 v3, v5
	v_pk_fma_f32 v[26:27], v[6:7], v[24:25], v[18:19] op_sel:[0,0,1] op_sel_hi:[1,1,0]
	v_pk_fma_f32 v[6:7], v[6:7], v[24:25], v[18:19] op_sel:[0,0,1] op_sel_hi:[1,0,0] neg_lo:[1,0,0] neg_hi:[1,0,0]
	v_pk_add_f32 v[4:5], v[14:15], v[38:39]
	v_mov_b32_e32 v6, v9
	v_mov_b32_e32 v27, v7
	s_waitcnt lgkmcnt(0)
	v_pk_mul_f32 v[6:7], v[16:17], v[6:7] op_sel_hi:[1,0]
	v_pk_add_f32 v[4:5], v[4:5], v[2:3]
	v_pk_fma_f32 v[36:37], v[16:17], v[8:9], v[6:7] op_sel:[0,0,1] op_sel_hi:[1,1,0]
	v_pk_fma_f32 v[6:7], v[16:17], v[8:9], v[6:7] op_sel:[0,0,1] op_sel_hi:[1,0,0] neg_lo:[0,0,1] neg_hi:[0,0,1]
	v_pk_add_f32 v[8:9], v[38:39], v[2:3]
	v_pk_add_f32 v[2:3], v[38:39], v[2:3] neg_lo:[0,1] neg_hi:[0,1]
	v_pk_fma_f32 v[8:9], v[8:9], 0.5, v[14:15] op_sel_hi:[1,0,1] neg_lo:[1,0,0] neg_hi:[1,0,0]
	v_pk_mul_f32 v[2:3], v[2:3], s[0:1] op_sel_hi:[1,0]
	ds_read_b64 v[18:19], v57 offset:1008
	ds_read_b64 v[24:25], v0
	v_pk_add_f32 v[14:15], v[8:9], v[2:3] op_sel:[0,1] op_sel_hi:[1,0] neg_lo:[0,1] neg_hi:[0,1]
	v_pk_add_f32 v[2:3], v[8:9], v[2:3] op_sel:[0,1] op_sel_hi:[1,0]
	s_waitcnt vmcnt(0)
	v_pk_mul_f32 v[8:9], v[10:11], v[22:23] op_sel:[0,1]
	s_waitcnt lgkmcnt(0)
	v_pk_fma_f32 v[16:17], v[10:11], v[22:23], v[8:9] op_sel:[0,0,1] op_sel_hi:[1,1,0]
	v_pk_fma_f32 v[8:9], v[10:11], v[22:23], v[8:9] op_sel:[0,0,1] op_sel_hi:[1,0,0] neg_lo:[1,0,0] neg_hi:[1,0,0]
	; wave barrier
	s_nop 0
	v_mov_b32_e32 v17, v9
	v_pk_mul_f32 v[8:9], v[12:13], v[20:21] op_sel:[0,1]
	v_mov_b32_e32 v37, v7
	v_pk_fma_f32 v[10:11], v[12:13], v[20:21], v[8:9] op_sel:[0,0,1] op_sel_hi:[1,1,0]
	v_pk_fma_f32 v[8:9], v[12:13], v[20:21], v[8:9] op_sel:[0,0,1] op_sel_hi:[1,0,0] neg_lo:[1,0,0] neg_hi:[1,0,0]
	v_mov_b32_e32 v12, v14
	v_mov_b32_e32 v11, v9
	;; [unrolled: 1-line block ×4, first 2 shown]
	ds_write2_b64 v34, v[4:5], v[12:13] offset1:189
	ds_write_b64 v34, v[2:3] offset:3024
	v_pk_add_f32 v[2:3], v[16:17], v[10:11]
	v_pk_add_f32 v[4:5], v[16:17], v[10:11] neg_lo:[0,1] neg_hi:[0,1]
	v_pk_add_f32 v[8:9], v[24:25], v[16:17]
	v_pk_fma_f32 v[2:3], v[2:3], 0.5, v[24:25] op_sel_hi:[1,0,1] neg_lo:[1,0,0] neg_hi:[1,0,0]
	v_pk_mul_f32 v[4:5], v[4:5], s[0:1] op_sel_hi:[1,0]
	v_pk_add_f32 v[8:9], v[8:9], v[10:11]
	v_pk_add_f32 v[10:11], v[2:3], v[4:5] op_sel:[0,1] op_sel_hi:[1,0] neg_lo:[0,1] neg_hi:[0,1]
	v_pk_add_f32 v[2:3], v[2:3], v[4:5] op_sel:[0,1] op_sel_hi:[1,0]
	v_mov_b32_e32 v4, v10
	v_mov_b32_e32 v5, v3
	v_mov_b32_e32 v3, v11
	ds_write2_b64 v0, v[8:9], v[4:5] offset1:189
	ds_write_b64 v0, v[2:3] offset:3024
	v_pk_add_f32 v[0:1], v[26:27], v[36:37]
	v_pk_add_f32 v[2:3], v[26:27], v[36:37] neg_lo:[0,1] neg_hi:[0,1]
	v_pk_fma_f32 v[0:1], v[0:1], 0.5, v[18:19] op_sel_hi:[1,0,1] neg_lo:[1,0,0] neg_hi:[1,0,0]
	v_pk_mul_f32 v[2:3], v[2:3], s[0:1] op_sel_hi:[1,0]
	v_pk_add_f32 v[6:7], v[18:19], v[26:27]
	v_pk_add_f32 v[4:5], v[0:1], v[2:3] op_sel:[0,1] op_sel_hi:[1,0] neg_lo:[0,1] neg_hi:[0,1]
	v_pk_add_f32 v[0:1], v[0:1], v[2:3] op_sel:[0,1] op_sel_hi:[1,0]
	v_pk_add_f32 v[6:7], v[6:7], v[36:37]
	v_mov_b32_e32 v2, v4
	v_mov_b32_e32 v3, v1
	v_add_u32_e32 v1, 0x200, v57
	ds_write2_b64 v1, v[6:7], v[2:3] offset0:62 offset1:251
	v_mov_b32_e32 v1, v5
	ds_write_b64 v57, v[0:1] offset:4032
	s_waitcnt lgkmcnt(0)
	; wave barrier
	s_waitcnt lgkmcnt(0)
	s_and_saveexec_b64 s[0:1], vcc
	s_cbranch_execz .LBB0_17
; %bb.16:
	v_mul_lo_u32 v0, s3, v30
	v_mul_lo_u32 v1, s2, v31
	v_mad_u64_u32 v[4:5], s[0:1], s2, v30, 0
	v_mad_u64_u32 v[6:7], s[0:1], s16, v32, 0
	v_add3_u32 v5, v5, v1, v0
	v_mov_b32_e32 v0, v7
	v_lshl_add_u32 v10, v32, 3, 0
	v_mad_u64_u32 v[8:9], s[0:1], s17, v32, v[0:1]
	ds_read2_b64 v[0:3], v10 offset1:63
	v_lshl_add_u64 v[4:5], v[4:5], 3, s[6:7]
	v_mov_b32_e32 v7, v8
	v_lshl_add_u64 v[4:5], v[28:29], 3, v[4:5]
	v_lshl_add_u64 v[6:7], v[6:7], 3, v[4:5]
	s_waitcnt lgkmcnt(0)
	global_store_dwordx2 v[6:7], v[0:1], off
	v_add_u32_e32 v7, 63, v32
	v_mad_u64_u32 v[0:1], s[0:1], s16, v7, 0
	v_mov_b32_e32 v6, v1
	v_mad_u64_u32 v[6:7], s[0:1], s17, v7, v[6:7]
	v_mov_b32_e32 v1, v6
	v_lshl_add_u64 v[0:1], v[0:1], 3, v[4:5]
	v_add_u32_e32 v9, 0x7e, v32
	global_store_dwordx2 v[0:1], v[2:3], off
	v_mad_u64_u32 v[6:7], s[0:1], s16, v9, 0
	ds_read2_b64 v[0:3], v10 offset0:126 offset1:189
	v_mov_b32_e32 v8, v7
	v_mad_u64_u32 v[8:9], s[0:1], s17, v9, v[8:9]
	v_mov_b32_e32 v7, v8
	v_lshl_add_u64 v[6:7], v[6:7], 3, v[4:5]
	s_waitcnt lgkmcnt(0)
	global_store_dwordx2 v[6:7], v[0:1], off
	v_add_u32_e32 v7, 0xbd, v32
	v_mad_u64_u32 v[0:1], s[0:1], s16, v7, 0
	v_mov_b32_e32 v6, v1
	v_mad_u64_u32 v[6:7], s[0:1], s17, v7, v[6:7]
	v_mov_b32_e32 v1, v6
	v_lshl_add_u64 v[0:1], v[0:1], 3, v[4:5]
	global_store_dwordx2 v[0:1], v[2:3], off
	v_add_u32_e32 v9, 0xfc, v32
	v_add_u32_e32 v0, 0x400, v10
	v_mad_u64_u32 v[6:7], s[0:1], s16, v9, 0
	ds_read2_b64 v[0:3], v0 offset0:124 offset1:187
	v_mov_b32_e32 v8, v7
	v_mad_u64_u32 v[8:9], s[0:1], s17, v9, v[8:9]
	v_mov_b32_e32 v7, v8
	v_lshl_add_u64 v[6:7], v[6:7], 3, v[4:5]
	s_waitcnt lgkmcnt(0)
	global_store_dwordx2 v[6:7], v[0:1], off
	v_add_u32_e32 v7, 0x13b, v32
	v_mad_u64_u32 v[0:1], s[0:1], s16, v7, 0
	v_mov_b32_e32 v6, v1
	v_mad_u64_u32 v[6:7], s[0:1], s17, v7, v[6:7]
	v_mov_b32_e32 v1, v6
	v_lshl_add_u64 v[0:1], v[0:1], 3, v[4:5]
	global_store_dwordx2 v[0:1], v[2:3], off
	v_add_u32_e32 v9, 0x17a, v32
	v_add_u32_e32 v0, 0x800, v10
	v_mad_u64_u32 v[6:7], s[0:1], s16, v9, 0
	ds_read2_b64 v[0:3], v0 offset0:122 offset1:185
	v_mov_b32_e32 v8, v7
	v_mad_u64_u32 v[8:9], s[0:1], s17, v9, v[8:9]
	v_mov_b32_e32 v7, v8
	v_lshl_add_u64 v[6:7], v[6:7], 3, v[4:5]
	s_waitcnt lgkmcnt(0)
	global_store_dwordx2 v[6:7], v[0:1], off
	v_add_u32_e32 v7, 0x1b9, v32
	v_mad_u64_u32 v[0:1], s[0:1], s16, v7, 0
	v_mov_b32_e32 v6, v1
	v_mad_u64_u32 v[6:7], s[0:1], s17, v7, v[6:7]
	v_mov_b32_e32 v1, v6
	v_lshl_add_u64 v[0:1], v[0:1], 3, v[4:5]
	global_store_dwordx2 v[0:1], v[2:3], off
	v_add_u32_e32 v3, 0x1f8, v32
	v_mad_u64_u32 v[0:1], s[0:1], s16, v3, 0
	ds_read_b64 v[6:7], v10 offset:4032
	v_mov_b32_e32 v2, v1
	v_mad_u64_u32 v[2:3], s[0:1], s17, v3, v[2:3]
	v_mov_b32_e32 v1, v2
	v_lshl_add_u64 v[0:1], v[0:1], 3, v[4:5]
	s_waitcnt lgkmcnt(0)
	global_store_dwordx2 v[0:1], v[6:7], off
.LBB0_17:
	s_endpgm
	.section	.rodata,"a",@progbits
	.p2align	6, 0x0
	.amdhsa_kernel fft_rtc_back_len567_factors_7_9_3_3_wgs_63_tpt_63_sp_op_CI_CI_sbrr_dirReg
		.amdhsa_group_segment_fixed_size 0
		.amdhsa_private_segment_fixed_size 0
		.amdhsa_kernarg_size 104
		.amdhsa_user_sgpr_count 2
		.amdhsa_user_sgpr_dispatch_ptr 0
		.amdhsa_user_sgpr_queue_ptr 0
		.amdhsa_user_sgpr_kernarg_segment_ptr 1
		.amdhsa_user_sgpr_dispatch_id 0
		.amdhsa_user_sgpr_kernarg_preload_length 0
		.amdhsa_user_sgpr_kernarg_preload_offset 0
		.amdhsa_user_sgpr_private_segment_size 0
		.amdhsa_uses_dynamic_stack 0
		.amdhsa_enable_private_segment 0
		.amdhsa_system_sgpr_workgroup_id_x 1
		.amdhsa_system_sgpr_workgroup_id_y 0
		.amdhsa_system_sgpr_workgroup_id_z 0
		.amdhsa_system_sgpr_workgroup_info 0
		.amdhsa_system_vgpr_workitem_id 0
		.amdhsa_next_free_vgpr 64
		.amdhsa_next_free_sgpr 32
		.amdhsa_accum_offset 64
		.amdhsa_reserve_vcc 1
		.amdhsa_float_round_mode_32 0
		.amdhsa_float_round_mode_16_64 0
		.amdhsa_float_denorm_mode_32 3
		.amdhsa_float_denorm_mode_16_64 3
		.amdhsa_dx10_clamp 1
		.amdhsa_ieee_mode 1
		.amdhsa_fp16_overflow 0
		.amdhsa_tg_split 0
		.amdhsa_exception_fp_ieee_invalid_op 0
		.amdhsa_exception_fp_denorm_src 0
		.amdhsa_exception_fp_ieee_div_zero 0
		.amdhsa_exception_fp_ieee_overflow 0
		.amdhsa_exception_fp_ieee_underflow 0
		.amdhsa_exception_fp_ieee_inexact 0
		.amdhsa_exception_int_div_zero 0
	.end_amdhsa_kernel
	.text
.Lfunc_end0:
	.size	fft_rtc_back_len567_factors_7_9_3_3_wgs_63_tpt_63_sp_op_CI_CI_sbrr_dirReg, .Lfunc_end0-fft_rtc_back_len567_factors_7_9_3_3_wgs_63_tpt_63_sp_op_CI_CI_sbrr_dirReg
                                        ; -- End function
	.section	.AMDGPU.csdata,"",@progbits
; Kernel info:
; codeLenInByte = 6036
; NumSgprs: 38
; NumVgprs: 64
; NumAgprs: 0
; TotalNumVgprs: 64
; ScratchSize: 0
; MemoryBound: 0
; FloatMode: 240
; IeeeMode: 1
; LDSByteSize: 0 bytes/workgroup (compile time only)
; SGPRBlocks: 4
; VGPRBlocks: 7
; NumSGPRsForWavesPerEU: 38
; NumVGPRsForWavesPerEU: 64
; AccumOffset: 64
; Occupancy: 8
; WaveLimiterHint : 1
; COMPUTE_PGM_RSRC2:SCRATCH_EN: 0
; COMPUTE_PGM_RSRC2:USER_SGPR: 2
; COMPUTE_PGM_RSRC2:TRAP_HANDLER: 0
; COMPUTE_PGM_RSRC2:TGID_X_EN: 1
; COMPUTE_PGM_RSRC2:TGID_Y_EN: 0
; COMPUTE_PGM_RSRC2:TGID_Z_EN: 0
; COMPUTE_PGM_RSRC2:TIDIG_COMP_CNT: 0
; COMPUTE_PGM_RSRC3_GFX90A:ACCUM_OFFSET: 15
; COMPUTE_PGM_RSRC3_GFX90A:TG_SPLIT: 0
	.text
	.p2alignl 6, 3212836864
	.fill 256, 4, 3212836864
	.type	__hip_cuid_77bc3cec676638dd,@object ; @__hip_cuid_77bc3cec676638dd
	.section	.bss,"aw",@nobits
	.globl	__hip_cuid_77bc3cec676638dd
__hip_cuid_77bc3cec676638dd:
	.byte	0                               ; 0x0
	.size	__hip_cuid_77bc3cec676638dd, 1

	.ident	"AMD clang version 19.0.0git (https://github.com/RadeonOpenCompute/llvm-project roc-6.4.0 25133 c7fe45cf4b819c5991fe208aaa96edf142730f1d)"
	.section	".note.GNU-stack","",@progbits
	.addrsig
	.addrsig_sym __hip_cuid_77bc3cec676638dd
	.amdgpu_metadata
---
amdhsa.kernels:
  - .agpr_count:     0
    .args:
      - .actual_access:  read_only
        .address_space:  global
        .offset:         0
        .size:           8
        .value_kind:     global_buffer
      - .offset:         8
        .size:           8
        .value_kind:     by_value
      - .actual_access:  read_only
        .address_space:  global
        .offset:         16
        .size:           8
        .value_kind:     global_buffer
      - .actual_access:  read_only
        .address_space:  global
        .offset:         24
        .size:           8
        .value_kind:     global_buffer
      - .actual_access:  read_only
        .address_space:  global
        .offset:         32
        .size:           8
        .value_kind:     global_buffer
      - .offset:         40
        .size:           8
        .value_kind:     by_value
      - .actual_access:  read_only
        .address_space:  global
        .offset:         48
        .size:           8
        .value_kind:     global_buffer
      - .actual_access:  read_only
        .address_space:  global
        .offset:         56
        .size:           8
        .value_kind:     global_buffer
      - .offset:         64
        .size:           4
        .value_kind:     by_value
      - .actual_access:  read_only
        .address_space:  global
        .offset:         72
        .size:           8
        .value_kind:     global_buffer
      - .actual_access:  read_only
        .address_space:  global
        .offset:         80
        .size:           8
        .value_kind:     global_buffer
      - .actual_access:  read_only
        .address_space:  global
        .offset:         88
        .size:           8
        .value_kind:     global_buffer
      - .actual_access:  write_only
        .address_space:  global
        .offset:         96
        .size:           8
        .value_kind:     global_buffer
    .group_segment_fixed_size: 0
    .kernarg_segment_align: 8
    .kernarg_segment_size: 104
    .language:       OpenCL C
    .language_version:
      - 2
      - 0
    .max_flat_workgroup_size: 63
    .name:           fft_rtc_back_len567_factors_7_9_3_3_wgs_63_tpt_63_sp_op_CI_CI_sbrr_dirReg
    .private_segment_fixed_size: 0
    .sgpr_count:     38
    .sgpr_spill_count: 0
    .symbol:         fft_rtc_back_len567_factors_7_9_3_3_wgs_63_tpt_63_sp_op_CI_CI_sbrr_dirReg.kd
    .uniform_work_group_size: 1
    .uses_dynamic_stack: false
    .vgpr_count:     64
    .vgpr_spill_count: 0
    .wavefront_size: 64
amdhsa.target:   amdgcn-amd-amdhsa--gfx950
amdhsa.version:
  - 1
  - 2
...

	.end_amdgpu_metadata
